;; amdgpu-corpus repo=ROCm/rocFFT kind=compiled arch=gfx950 opt=O3
	.text
	.amdgcn_target "amdgcn-amd-amdhsa--gfx950"
	.amdhsa_code_object_version 6
	.protected	fft_rtc_fwd_len455_factors_13_5_7_wgs_195_tpt_65_dp_ip_CI_unitstride_sbrr_dirReg ; -- Begin function fft_rtc_fwd_len455_factors_13_5_7_wgs_195_tpt_65_dp_ip_CI_unitstride_sbrr_dirReg
	.globl	fft_rtc_fwd_len455_factors_13_5_7_wgs_195_tpt_65_dp_ip_CI_unitstride_sbrr_dirReg
	.p2align	8
	.type	fft_rtc_fwd_len455_factors_13_5_7_wgs_195_tpt_65_dp_ip_CI_unitstride_sbrr_dirReg,@function
fft_rtc_fwd_len455_factors_13_5_7_wgs_195_tpt_65_dp_ip_CI_unitstride_sbrr_dirReg: ; @fft_rtc_fwd_len455_factors_13_5_7_wgs_195_tpt_65_dp_ip_CI_unitstride_sbrr_dirReg
; %bb.0:
	s_load_dwordx2 s[8:9], s[0:1], 0x50
	s_load_dwordx4 s[4:7], s[0:1], 0x0
	s_load_dwordx2 s[10:11], s[0:1], 0x18
	v_mul_u32_u24_e32 v1, 0x3f1, v0
	v_lshrrev_b32_e32 v2, 16, v1
	v_mad_u64_u32 v[12:13], s[2:3], s2, 3, v[2:3]
	v_mov_b32_e32 v4, 0
	v_mov_b32_e32 v13, v4
	s_waitcnt lgkmcnt(0)
	v_cmp_lt_u64_e64 s[2:3], s[6:7], 2
	s_and_b64 vcc, exec, s[2:3]
	v_mov_b64_e32 v[2:3], 0
	v_mov_b64_e32 v[8:9], v[12:13]
	s_cbranch_vccnz .LBB0_8
; %bb.1:
	s_load_dwordx2 s[2:3], s[0:1], 0x10
	s_add_u32 s12, s10, 8
	s_addc_u32 s13, s11, 0
	s_mov_b64 s[14:15], 1
	v_mov_b64_e32 v[2:3], 0
	s_waitcnt lgkmcnt(0)
	s_add_u32 s16, s2, 8
	s_addc_u32 s17, s3, 0
	v_mov_b64_e32 v[6:7], v[12:13]
.LBB0_2:                                ; =>This Inner Loop Header: Depth=1
	s_load_dwordx2 s[18:19], s[16:17], 0x0
                                        ; implicit-def: $vgpr8_vgpr9
	s_waitcnt lgkmcnt(0)
	v_or_b32_e32 v5, s19, v7
	v_cmp_ne_u64_e32 vcc, 0, v[4:5]
	s_and_saveexec_b64 s[2:3], vcc
	s_xor_b64 s[20:21], exec, s[2:3]
	s_cbranch_execz .LBB0_4
; %bb.3:                                ;   in Loop: Header=BB0_2 Depth=1
	v_cvt_f32_u32_e32 v1, s18
	v_cvt_f32_u32_e32 v5, s19
	s_sub_u32 s2, 0, s18
	s_subb_u32 s3, 0, s19
	v_fmac_f32_e32 v1, 0x4f800000, v5
	v_rcp_f32_e32 v1, v1
	s_nop 0
	v_mul_f32_e32 v1, 0x5f7ffffc, v1
	v_mul_f32_e32 v5, 0x2f800000, v1
	v_trunc_f32_e32 v5, v5
	v_fmac_f32_e32 v1, 0xcf800000, v5
	v_cvt_u32_f32_e32 v5, v5
	v_cvt_u32_f32_e32 v1, v1
	v_mul_lo_u32 v8, s2, v5
	v_mul_hi_u32 v10, s2, v1
	v_mul_lo_u32 v9, s3, v1
	v_add_u32_e32 v10, v10, v8
	v_mul_lo_u32 v13, s2, v1
	v_add_u32_e32 v14, v10, v9
	v_mul_hi_u32 v8, v1, v13
	v_mul_hi_u32 v11, v1, v14
	v_mul_lo_u32 v10, v1, v14
	v_mov_b32_e32 v9, v4
	v_lshl_add_u64 v[8:9], v[8:9], 0, v[10:11]
	v_mul_hi_u32 v11, v5, v13
	v_mul_lo_u32 v13, v5, v13
	v_add_co_u32_e32 v8, vcc, v8, v13
	v_mul_hi_u32 v10, v5, v14
	s_nop 0
	v_addc_co_u32_e32 v8, vcc, v9, v11, vcc
	v_mov_b32_e32 v9, v4
	s_nop 0
	v_addc_co_u32_e32 v11, vcc, 0, v10, vcc
	v_mul_lo_u32 v10, v5, v14
	v_lshl_add_u64 v[8:9], v[8:9], 0, v[10:11]
	v_add_co_u32_e32 v1, vcc, v1, v8
	v_mul_lo_u32 v10, s2, v1
	s_nop 0
	v_addc_co_u32_e32 v5, vcc, v5, v9, vcc
	v_mul_lo_u32 v8, s2, v5
	v_mul_hi_u32 v9, s2, v1
	v_add_u32_e32 v8, v9, v8
	v_mul_lo_u32 v9, s3, v1
	v_add_u32_e32 v13, v8, v9
	v_mul_hi_u32 v15, v5, v10
	v_mul_lo_u32 v16, v5, v10
	v_mul_hi_u32 v9, v1, v13
	v_mul_lo_u32 v8, v1, v13
	v_mul_hi_u32 v10, v1, v10
	v_mov_b32_e32 v11, v4
	v_lshl_add_u64 v[8:9], v[10:11], 0, v[8:9]
	v_add_co_u32_e32 v8, vcc, v8, v16
	v_mul_hi_u32 v14, v5, v13
	s_nop 0
	v_addc_co_u32_e32 v8, vcc, v9, v15, vcc
	v_mul_lo_u32 v10, v5, v13
	s_nop 0
	v_addc_co_u32_e32 v11, vcc, 0, v14, vcc
	v_mov_b32_e32 v9, v4
	v_lshl_add_u64 v[8:9], v[8:9], 0, v[10:11]
	v_add_co_u32_e32 v1, vcc, v1, v8
	v_mul_hi_u32 v10, v6, v1
	s_nop 0
	v_addc_co_u32_e32 v5, vcc, v5, v9, vcc
	v_mad_u64_u32 v[8:9], s[2:3], v6, v5, 0
	v_mov_b32_e32 v11, v4
	v_lshl_add_u64 v[8:9], v[10:11], 0, v[8:9]
	v_mad_u64_u32 v[14:15], s[2:3], v7, v1, 0
	v_add_co_u32_e32 v1, vcc, v8, v14
	v_mad_u64_u32 v[10:11], s[2:3], v7, v5, 0
	s_nop 0
	v_addc_co_u32_e32 v8, vcc, v9, v15, vcc
	v_mov_b32_e32 v9, v4
	s_nop 0
	v_addc_co_u32_e32 v11, vcc, 0, v11, vcc
	v_lshl_add_u64 v[8:9], v[8:9], 0, v[10:11]
	v_mul_lo_u32 v1, s19, v8
	v_mul_lo_u32 v5, s18, v9
	v_mad_u64_u32 v[10:11], s[2:3], s18, v8, 0
	v_add3_u32 v1, v11, v5, v1
	v_sub_u32_e32 v5, v7, v1
	v_mov_b32_e32 v11, s19
	v_sub_co_u32_e32 v13, vcc, v6, v10
	v_lshl_add_u64 v[14:15], v[8:9], 0, 1
	s_nop 0
	v_subb_co_u32_e64 v5, s[2:3], v5, v11, vcc
	v_subrev_co_u32_e64 v10, s[2:3], s18, v13
	v_subb_co_u32_e32 v1, vcc, v7, v1, vcc
	s_nop 0
	v_subbrev_co_u32_e64 v5, s[2:3], 0, v5, s[2:3]
	v_cmp_le_u32_e64 s[2:3], s19, v5
	v_cmp_le_u32_e32 vcc, s19, v1
	s_nop 0
	v_cndmask_b32_e64 v11, 0, -1, s[2:3]
	v_cmp_le_u32_e64 s[2:3], s18, v10
	s_nop 1
	v_cndmask_b32_e64 v10, 0, -1, s[2:3]
	v_cmp_eq_u32_e64 s[2:3], s19, v5
	s_nop 1
	v_cndmask_b32_e64 v5, v11, v10, s[2:3]
	v_lshl_add_u64 v[10:11], v[8:9], 0, 2
	v_cmp_ne_u32_e64 s[2:3], 0, v5
	s_nop 1
	v_cndmask_b32_e64 v5, v15, v11, s[2:3]
	v_cndmask_b32_e64 v11, 0, -1, vcc
	v_cmp_le_u32_e32 vcc, s18, v13
	s_nop 1
	v_cndmask_b32_e64 v13, 0, -1, vcc
	v_cmp_eq_u32_e32 vcc, s19, v1
	s_nop 1
	v_cndmask_b32_e32 v1, v11, v13, vcc
	v_cmp_ne_u32_e32 vcc, 0, v1
	v_cndmask_b32_e64 v1, v14, v10, s[2:3]
	s_nop 0
	v_cndmask_b32_e32 v9, v9, v5, vcc
	v_cndmask_b32_e32 v8, v8, v1, vcc
.LBB0_4:                                ;   in Loop: Header=BB0_2 Depth=1
	s_andn2_saveexec_b64 s[2:3], s[20:21]
	s_cbranch_execz .LBB0_6
; %bb.5:                                ;   in Loop: Header=BB0_2 Depth=1
	v_cvt_f32_u32_e32 v1, s18
	s_sub_i32 s20, 0, s18
	v_rcp_iflag_f32_e32 v1, v1
	s_nop 0
	v_mul_f32_e32 v1, 0x4f7ffffe, v1
	v_cvt_u32_f32_e32 v1, v1
	v_mul_lo_u32 v5, s20, v1
	v_mul_hi_u32 v5, v1, v5
	v_add_u32_e32 v1, v1, v5
	v_mul_hi_u32 v1, v6, v1
	v_mul_lo_u32 v5, v1, s18
	v_sub_u32_e32 v5, v6, v5
	v_add_u32_e32 v8, 1, v1
	v_subrev_u32_e32 v9, s18, v5
	v_cmp_le_u32_e32 vcc, s18, v5
	s_nop 1
	v_cndmask_b32_e32 v5, v5, v9, vcc
	v_cndmask_b32_e32 v1, v1, v8, vcc
	v_add_u32_e32 v8, 1, v1
	v_cmp_le_u32_e32 vcc, s18, v5
	v_mov_b32_e32 v9, v4
	s_nop 0
	v_cndmask_b32_e32 v8, v1, v8, vcc
.LBB0_6:                                ;   in Loop: Header=BB0_2 Depth=1
	s_or_b64 exec, exec, s[2:3]
	v_mad_u64_u32 v[10:11], s[2:3], v8, s18, 0
	s_load_dwordx2 s[2:3], s[12:13], 0x0
	v_mul_lo_u32 v1, v9, s18
	v_mul_lo_u32 v5, v8, s19
	v_add3_u32 v1, v11, v5, v1
	v_sub_co_u32_e32 v5, vcc, v6, v10
	s_add_u32 s14, s14, 1
	s_nop 0
	v_subb_co_u32_e32 v1, vcc, v7, v1, vcc
	s_addc_u32 s15, s15, 0
	s_waitcnt lgkmcnt(0)
	v_mul_lo_u32 v1, s2, v1
	v_mul_lo_u32 v6, s3, v5
	v_mad_u64_u32 v[2:3], s[2:3], s2, v5, v[2:3]
	s_add_u32 s12, s12, 8
	v_add3_u32 v3, v6, v3, v1
	s_addc_u32 s13, s13, 0
	v_mov_b64_e32 v[6:7], s[6:7]
	s_add_u32 s16, s16, 8
	v_cmp_ge_u64_e32 vcc, s[14:15], v[6:7]
	s_addc_u32 s17, s17, 0
	s_cbranch_vccnz .LBB0_8
; %bb.7:                                ;   in Loop: Header=BB0_2 Depth=1
	v_mov_b64_e32 v[6:7], v[8:9]
	s_branch .LBB0_2
.LBB0_8:
	s_lshl_b64 s[2:3], s[6:7], 3
	s_add_u32 s2, s10, s2
	s_addc_u32 s3, s11, s3
	s_load_dwordx2 s[6:7], s[2:3], 0x0
	s_load_dwordx2 s[10:11], s[0:1], 0x20
	v_mov_b32_e32 v82, 0
                                        ; implicit-def: $vgpr62_vgpr63
                                        ; implicit-def: $vgpr58_vgpr59
                                        ; implicit-def: $vgpr50_vgpr51
                                        ; implicit-def: $vgpr46_vgpr47
                                        ; implicit-def: $vgpr42_vgpr43
                                        ; implicit-def: $vgpr38_vgpr39
                                        ; implicit-def: $vgpr34_vgpr35
                                        ; implicit-def: $vgpr26_vgpr27
                                        ; implicit-def: $vgpr22_vgpr23
                                        ; implicit-def: $vgpr18_vgpr19
                                        ; implicit-def: $vgpr10_vgpr11
                                        ; implicit-def: $vgpr6_vgpr7
	s_waitcnt lgkmcnt(0)
	v_mad_u64_u32 v[80:81], s[0:1], s6, v8, v[2:3]
	v_mul_lo_u32 v1, s6, v9
	v_mul_lo_u32 v4, s7, v8
	s_mov_b32 s0, 0x3f03f04
	v_add3_u32 v81, v4, v81, v1
	v_mul_hi_u32 v1, v0, s0
	v_mul_u32_u24_e32 v1, 0x41, v1
	v_cmp_gt_u64_e32 vcc, s[10:11], v[8:9]
	v_sub_u32_e32 v84, v0, v1
                                        ; implicit-def: $vgpr2_vgpr3
	s_and_saveexec_b64 s[2:3], vcc
	s_cbranch_execz .LBB0_12
; %bb.9:
	v_cmp_gt_u32_e64 s[0:1], 35, v84
                                        ; implicit-def: $vgpr0_vgpr1
                                        ; implicit-def: $vgpr4_vgpr5
                                        ; implicit-def: $vgpr8_vgpr9
                                        ; implicit-def: $vgpr16_vgpr17
                                        ; implicit-def: $vgpr20_vgpr21
                                        ; implicit-def: $vgpr24_vgpr25
                                        ; implicit-def: $vgpr32_vgpr33
                                        ; implicit-def: $vgpr36_vgpr37
                                        ; implicit-def: $vgpr40_vgpr41
                                        ; implicit-def: $vgpr44_vgpr45
                                        ; implicit-def: $vgpr48_vgpr49
                                        ; implicit-def: $vgpr56_vgpr57
                                        ; implicit-def: $vgpr60_vgpr61
	s_and_saveexec_b64 s[6:7], s[0:1]
	s_cbranch_execz .LBB0_11
; %bb.10:
	v_mov_b32_e32 v85, 0
	v_lshl_add_u64 v[0:1], v[80:81], 4, s[8:9]
	v_lshl_add_u64 v[14:15], v[84:85], 4, v[0:1]
	global_load_dwordx4 v[0:3], v[14:15], off
	global_load_dwordx4 v[4:7], v[14:15], off offset:560
	global_load_dwordx4 v[8:11], v[14:15], off offset:1120
	global_load_dwordx4 v[16:19], v[14:15], off offset:1680
	global_load_dwordx4 v[20:23], v[14:15], off offset:2240
	global_load_dwordx4 v[24:27], v[14:15], off offset:2800
	global_load_dwordx4 v[32:35], v[14:15], off offset:3360
	global_load_dwordx4 v[36:39], v[14:15], off offset:3920
	s_movk_i32 s0, 0x1000
	v_add_co_u32_e64 v14, s[0:1], s0, v14
	s_nop 1
	v_addc_co_u32_e64 v15, s[0:1], 0, v15, s[0:1]
	global_load_dwordx4 v[40:43], v[14:15], off offset:384
	global_load_dwordx4 v[44:47], v[14:15], off offset:944
	global_load_dwordx4 v[48:51], v[14:15], off offset:1504
	global_load_dwordx4 v[56:59], v[14:15], off offset:2064
	global_load_dwordx4 v[60:63], v[14:15], off offset:2624
.LBB0_11:
	s_or_b64 exec, exec, s[6:7]
	v_mov_b32_e32 v82, v84
.LBB0_12:
	s_or_b64 exec, exec, s[2:3]
	s_mov_b32 s0, 0xaaaaaaab
	v_mul_hi_u32 v13, v12, s0
	v_lshrrev_b32_e32 v13, 1, v13
	s_mov_b32 s2, 0xb2365da1
	v_lshl_add_u32 v13, v13, 1, v13
	s_waitcnt vmcnt(0)
	v_add_f64 v[86:87], v[60:61], v[4:5]
	s_mov_b32 s3, 0xbfd6b1d8
	s_mov_b32 s12, 0x2ef20147
	;; [unrolled: 1-line block ×3, first 2 shown]
	v_sub_u32_e32 v12, v12, v13
	v_add_f64 v[92:93], v[4:5], -v[60:61]
	v_add_f64 v[90:91], v[6:7], -v[62:63]
	v_mul_f64 v[72:73], v[86:87], s[2:3]
	s_mov_b32 s13, 0xbfedeba7
	s_mov_b32 s7, 0xbfe7f3cc
	;; [unrolled: 1-line block ×3, first 2 shown]
	v_add_f64 v[94:95], v[56:57], v[8:9]
	v_mul_u32_u24_e32 v83, 0x1c7, v12
	v_add_f64 v[88:89], v[62:63], v[6:7]
	v_mul_f64 v[74:75], v[92:93], s[12:13]
	v_fma_f64 v[12:13], s[12:13], v[90:91], v[72:73]
	s_mov_b32 s21, 0x3fe5384d
	v_add_f64 v[100:101], v[8:9], -v[56:57]
	v_add_f64 v[98:99], v[10:11], -v[58:59]
	v_mul_f64 v[76:77], v[94:95], s[6:7]
	v_add_f64 v[12:13], v[0:1], v[12:13]
	v_fma_f64 v[14:15], v[88:89], s[2:3], -v[74:75]
	v_add_f64 v[96:97], v[58:59], v[10:11]
	v_mul_f64 v[78:79], v[100:101], s[20:21]
	v_fma_f64 v[102:103], s[20:21], v[98:99], v[76:77]
	s_mov_b32 s18, 0xebaa3ed8
	v_add_f64 v[14:15], v[2:3], v[14:15]
	v_mul_f64 v[28:29], v[86:87], s[6:7]
	v_add_f64 v[12:13], v[102:103], v[12:13]
	v_fma_f64 v[102:103], v[96:97], s[6:7], -v[78:79]
	s_mov_b32 s19, 0x3fbedb7d
	s_mov_b32 s24, 0x66966769
	v_fma_f64 v[30:31], s[20:21], v[90:91], v[28:29]
	s_mov_b32 s15, 0xbfe5384d
	s_mov_b32 s14, s20
	v_add_f64 v[14:15], v[102:103], v[14:15]
	v_mul_f64 v[102:103], v[94:95], s[18:19]
	s_mov_b32 s25, 0xbfefc445
	v_add_f64 v[30:31], v[0:1], v[30:31]
	v_mul_f64 v[52:53], v[92:93], s[14:15]
	v_fmac_f64_e32 v[28:29], s[14:15], v[90:91]
	s_mov_b32 s10, 0x93053d00
	v_fma_f64 v[104:105], s[24:25], v[98:99], v[102:103]
	s_mov_b32 s31, 0x3fefc445
	s_mov_b32 s30, s24
	v_fma_f64 v[54:55], s[6:7], v[88:89], v[52:53]
	v_add_f64 v[28:29], v[0:1], v[28:29]
	v_fma_f64 v[52:53], v[88:89], s[6:7], -v[52:53]
	s_mov_b32 s11, 0xbfef11f4
	s_mov_b32 s38, 0x4bc48dbf
	v_add_f64 v[30:31], v[104:105], v[30:31]
	v_mul_f64 v[104:105], v[100:101], s[30:31]
	v_fmac_f64_e32 v[102:103], s[30:31], v[98:99]
	s_mov_b32 s22, 0xe00740e9
	v_add_f64 v[52:53], v[2:3], v[52:53]
	v_mul_f64 v[64:65], v[86:87], s[10:11]
	s_mov_b32 s39, 0x3fcea1e5
	v_add_f64 v[28:29], v[102:103], v[28:29]
	v_fma_f64 v[102:103], v[96:97], s[18:19], -v[104:105]
	s_mov_b32 s23, 0x3fec55a7
	s_mov_b32 s26, 0x4267c47c
	v_fma_f64 v[66:67], s[38:39], v[90:91], v[64:65]
	s_mov_b32 s17, 0xbfcea1e5
	s_mov_b32 s16, s38
	v_add_f64 v[52:53], v[102:103], v[52:53]
	v_mul_f64 v[102:103], v[94:95], s[22:23]
	s_mov_b32 s27, 0xbfddbe06
	v_add_f64 v[66:67], v[0:1], v[66:67]
	v_mul_f64 v[68:69], v[92:93], s[16:17]
	v_fmac_f64_e32 v[64:65], s[16:17], v[90:91]
	v_fma_f64 v[106:107], s[18:19], v[96:97], v[104:105]
	v_fma_f64 v[104:105], s[26:27], v[98:99], v[102:103]
	s_mov_b32 s37, 0x3fddbe06
	s_mov_b32 s36, s26
	v_fma_f64 v[70:71], s[10:11], v[88:89], v[68:69]
	v_add_f64 v[64:65], v[0:1], v[64:65]
	v_fma_f64 v[68:69], v[88:89], s[10:11], -v[68:69]
	v_add_f64 v[66:67], v[104:105], v[66:67]
	v_mul_f64 v[104:105], v[100:101], s[36:37]
	v_fmac_f64_e32 v[102:103], s[36:37], v[98:99]
	v_add_f64 v[54:55], v[2:3], v[54:55]
	v_add_f64 v[68:69], v[2:3], v[68:69]
	;; [unrolled: 1-line block ×3, first 2 shown]
	v_fma_f64 v[102:103], v[96:97], s[22:23], -v[104:105]
	v_add_f64 v[70:71], v[2:3], v[70:71]
	v_add_f64 v[54:55], v[106:107], v[54:55]
	v_fma_f64 v[106:107], s[22:23], v[96:97], v[104:105]
	v_add_f64 v[68:69], v[102:103], v[68:69]
	v_add_f64 v[102:103], v[48:49], v[16:17]
	;; [unrolled: 1-line block ×3, first 2 shown]
	v_add_f64 v[108:109], v[16:17], -v[48:49]
	v_add_f64 v[106:107], v[18:19], -v[50:51]
	v_mul_f64 v[130:131], v[102:103], s[22:23]
	v_add_f64 v[104:105], v[50:51], v[18:19]
	v_mul_f64 v[134:135], v[108:109], s[36:37]
	v_fma_f64 v[110:111], s[36:37], v[106:107], v[130:131]
	s_mov_b32 s28, 0x1ea71119
	v_add_f64 v[12:13], v[110:111], v[12:13]
	v_fma_f64 v[110:111], v[104:105], s[22:23], -v[134:135]
	s_mov_b32 s29, 0x3fe22d96
	s_mov_b32 s42, 0x42a4c3d2
	v_add_f64 v[14:15], v[110:111], v[14:15]
	v_mul_f64 v[110:111], v[102:103], s[28:29]
	s_mov_b32 s43, 0x3fea55e2
	v_fma_f64 v[112:113], s[42:43], v[106:107], v[110:111]
	s_mov_b32 s35, 0xbfea55e2
	s_mov_b32 s34, s42
	v_add_f64 v[30:31], v[112:113], v[30:31]
	v_mul_f64 v[112:113], v[108:109], s[34:35]
	v_fmac_f64_e32 v[110:111], s[34:35], v[106:107]
	v_add_f64 v[28:29], v[110:111], v[28:29]
	v_fma_f64 v[110:111], v[104:105], s[28:29], -v[112:113]
	v_add_f64 v[52:53], v[110:111], v[52:53]
	v_mul_f64 v[110:111], v[102:103], s[6:7]
	v_fma_f64 v[114:115], s[28:29], v[104:105], v[112:113]
	v_fma_f64 v[112:113], s[20:21], v[106:107], v[110:111]
	v_add_f64 v[66:67], v[112:113], v[66:67]
	v_mul_f64 v[112:113], v[108:109], s[14:15]
	v_fmac_f64_e32 v[110:111], s[14:15], v[106:107]
	v_add_f64 v[64:65], v[110:111], v[64:65]
	v_fma_f64 v[110:111], v[104:105], s[6:7], -v[112:113]
	v_add_f64 v[54:55], v[114:115], v[54:55]
	v_fma_f64 v[114:115], s[6:7], v[104:105], v[112:113]
	v_add_f64 v[68:69], v[110:111], v[68:69]
	v_add_f64 v[110:111], v[44:45], v[20:21]
	;; [unrolled: 1-line block ×3, first 2 shown]
	v_add_f64 v[116:117], v[20:21], -v[44:45]
	v_add_f64 v[114:115], v[22:23], -v[46:47]
	v_mul_f64 v[138:139], v[110:111], s[18:19]
	v_add_f64 v[112:113], v[46:47], v[22:23]
	v_mul_f64 v[140:141], v[116:117], s[24:25]
	v_fma_f64 v[118:119], s[24:25], v[114:115], v[138:139]
	v_add_f64 v[12:13], v[118:119], v[12:13]
	v_fma_f64 v[118:119], v[112:113], s[18:19], -v[140:141]
	v_add_f64 v[14:15], v[118:119], v[14:15]
	v_mul_f64 v[118:119], v[110:111], s[10:11]
	v_fma_f64 v[120:121], s[16:17], v[114:115], v[118:119]
	v_add_f64 v[30:31], v[120:121], v[30:31]
	v_mul_f64 v[120:121], v[116:117], s[38:39]
	v_fmac_f64_e32 v[118:119], s[38:39], v[114:115]
	v_add_f64 v[28:29], v[118:119], v[28:29]
	v_fma_f64 v[118:119], v[112:113], s[10:11], -v[120:121]
	v_add_f64 v[52:53], v[118:119], v[52:53]
	v_mul_f64 v[118:119], v[110:111], s[28:29]
	v_fma_f64 v[122:123], s[10:11], v[112:113], v[120:121]
	v_fma_f64 v[120:121], s[34:35], v[114:115], v[118:119]
	v_add_f64 v[66:67], v[120:121], v[66:67]
	v_mul_f64 v[120:121], v[116:117], s[42:43]
	v_fmac_f64_e32 v[118:119], s[42:43], v[114:115]
	v_add_f64 v[64:65], v[118:119], v[64:65]
	v_fma_f64 v[118:119], v[112:113], s[28:29], -v[120:121]
	v_add_f64 v[54:55], v[122:123], v[54:55]
	v_fma_f64 v[122:123], s[28:29], v[112:113], v[120:121]
	v_add_f64 v[68:69], v[118:119], v[68:69]
	v_add_f64 v[118:119], v[40:41], v[24:25]
	;; [unrolled: 1-line block ×3, first 2 shown]
	v_add_f64 v[124:125], v[24:25], -v[40:41]
	v_add_f64 v[122:123], v[26:27], -v[42:43]
	v_mul_f64 v[142:143], v[118:119], s[10:11]
	v_add_f64 v[120:121], v[42:43], v[26:27]
	v_mul_f64 v[144:145], v[124:125], s[38:39]
	v_fma_f64 v[126:127], s[38:39], v[122:123], v[142:143]
	v_add_f64 v[12:13], v[126:127], v[12:13]
	v_fma_f64 v[126:127], v[120:121], s[10:11], -v[144:145]
	v_add_f64 v[14:15], v[126:127], v[14:15]
	v_mul_f64 v[126:127], v[118:119], s[22:23]
	v_fma_f64 v[128:129], s[26:27], v[122:123], v[126:127]
	v_add_f64 v[150:151], v[128:129], v[30:31]
	v_mul_f64 v[30:31], v[124:125], s[36:37]
	v_fmac_f64_e32 v[126:127], s[36:37], v[122:123]
	v_add_f64 v[152:153], v[126:127], v[28:29]
	v_fma_f64 v[28:29], v[120:121], s[22:23], -v[30:31]
	v_add_f64 v[154:155], v[28:29], v[52:53]
	v_mul_f64 v[28:29], v[118:119], s[2:3]
	s_mov_b32 s45, 0x3fedeba7
	s_mov_b32 s44, s12
	v_fma_f64 v[128:129], s[22:23], v[120:121], v[30:31]
	v_fma_f64 v[30:31], s[44:45], v[122:123], v[28:29]
	v_add_f64 v[66:67], v[30:31], v[66:67]
	v_mul_f64 v[30:31], v[124:125], s[12:13]
	v_fmac_f64_e32 v[28:29], s[12:13], v[122:123]
	v_add_f64 v[126:127], v[36:37], v[32:33]
	v_add_f64 v[156:157], v[28:29], v[64:65]
	v_fma_f64 v[28:29], v[120:121], s[2:3], -v[30:31]
	v_add_f64 v[136:137], v[32:33], -v[36:37]
	v_add_f64 v[132:133], v[34:35], -v[38:39]
	v_mul_f64 v[146:147], v[126:127], s[28:29]
	v_add_f64 v[54:55], v[128:129], v[54:55]
	v_fma_f64 v[52:53], s[2:3], v[120:121], v[30:31]
	v_add_f64 v[158:159], v[28:29], v[68:69]
	v_add_f64 v[128:129], v[38:39], v[34:35]
	v_mul_f64 v[148:149], v[136:137], s[42:43]
	v_fma_f64 v[28:29], s[42:43], v[132:133], v[146:147]
	v_add_f64 v[70:71], v[52:53], v[70:71]
	v_add_f64 v[28:29], v[28:29], v[12:13]
	v_fma_f64 v[12:13], v[128:129], s[28:29], -v[148:149]
	v_mul_f64 v[52:53], v[126:127], s[2:3]
	v_mul_f64 v[64:65], v[136:137], s[12:13]
	v_add_f64 v[30:31], v[12:13], v[14:15]
	v_fma_f64 v[12:13], s[44:45], v[132:133], v[52:53]
	v_fma_f64 v[14:15], s[2:3], v[128:129], v[64:65]
	v_mul_f64 v[68:69], v[126:127], s[18:19]
	v_add_f64 v[12:13], v[12:13], v[150:151]
	v_add_f64 v[14:15], v[14:15], v[54:55]
	v_fma_f64 v[54:55], v[128:129], s[2:3], -v[64:65]
	v_fma_f64 v[64:65], s[24:25], v[132:133], v[68:69]
	v_mul_f64 v[150:151], v[136:137], s[30:31]
	v_add_f64 v[64:65], v[64:65], v[66:67]
	v_fma_f64 v[66:67], s[18:19], v[128:129], v[150:151]
	v_fmac_f64_e32 v[52:53], s[12:13], v[132:133]
	v_add_f64 v[66:67], v[66:67], v[70:71]
	v_fmac_f64_e32 v[68:69], s[30:31], v[132:133]
	v_fma_f64 v[70:71], v[128:129], s[18:19], -v[150:151]
	v_add_f64 v[52:53], v[52:53], v[152:153]
	v_add_f64 v[54:55], v[54:55], v[154:155]
	;; [unrolled: 1-line block ×4, first 2 shown]
	v_cmp_gt_u32_e64 s[0:1], 35, v84
	v_lshlrev_b32_e32 v83, 4, v83
	s_and_saveexec_b64 s[40:41], s[0:1]
	s_cbranch_execz .LBB0_14
; %bb.13:
	v_mul_f64 v[158:159], v[128:129], s[28:29]
	v_mul_f64 v[152:153], v[88:89], s[2:3]
	v_add_f64 v[148:149], v[158:159], v[148:149]
	v_mul_f64 v[158:159], v[120:121], s[10:11]
	v_mul_f64 v[156:157], v[96:97], s[6:7]
	v_add_f64 v[144:145], v[158:159], v[144:145]
	v_mul_f64 v[158:159], v[112:113], s[18:19]
	v_add_f64 v[74:75], v[152:153], v[74:75]
	v_add_f64 v[140:141], v[158:159], v[140:141]
	v_mul_f64 v[158:159], v[104:105], s[22:23]
	v_add_f64 v[78:79], v[156:157], v[78:79]
	v_add_f64 v[74:75], v[2:3], v[74:75]
	;; [unrolled: 1-line block ×4, first 2 shown]
	v_mul_f64 v[150:151], v[90:91], s[12:13]
	v_add_f64 v[74:75], v[134:135], v[74:75]
	v_mul_f64 v[154:155], v[98:99], s[20:21]
	v_add_f64 v[74:75], v[140:141], v[74:75]
	v_add_f64 v[72:73], v[72:73], -v[150:151]
	v_mul_f64 v[158:159], v[106:107], s[36:37]
	v_mul_f64 v[152:153], v[122:123], s[38:39]
	;; [unrolled: 1-line block ×3, first 2 shown]
	v_add_f64 v[74:75], v[144:145], v[74:75]
	v_add_f64 v[76:77], v[76:77], -v[154:155]
	v_add_f64 v[72:73], v[0:1], v[72:73]
	v_mul_f64 v[150:151], v[92:93], s[24:25]
	v_mul_f64 v[156:157], v[114:115], s[24:25]
	v_add_f64 v[78:79], v[148:149], v[74:75]
	v_add_f64 v[74:75], v[146:147], -v[160:161]
	v_add_f64 v[134:135], v[142:143], -v[152:153]
	;; [unrolled: 1-line block ×3, first 2 shown]
	v_add_f64 v[72:73], v[76:77], v[72:73]
	v_mul_f64 v[146:147], v[100:101], s[16:17]
	v_fma_f64 v[152:153], v[88:89], s[18:19], -v[150:151]
	v_add_f64 v[138:139], v[138:139], -v[156:157]
	v_add_f64 v[72:73], v[130:131], v[72:73]
	v_mul_f64 v[142:143], v[108:109], s[44:45]
	v_fma_f64 v[148:149], v[96:97], s[10:11], -v[146:147]
	v_add_f64 v[152:153], v[2:3], v[152:153]
	v_add_f64 v[72:73], v[138:139], v[72:73]
	v_mul_f64 v[138:139], v[116:117], s[36:37]
	v_fma_f64 v[144:145], v[104:105], s[2:3], -v[142:143]
	v_add_f64 v[148:149], v[148:149], v[152:153]
	;; [unrolled: 4-line block ×4, first 2 shown]
	v_mul_f64 v[156:157], v[90:91], s[24:25]
	v_fma_f64 v[72:73], v[128:129], s[6:7], -v[130:131]
	v_add_f64 v[74:75], v[74:75], v[140:141]
	v_mul_f64 v[154:155], v[98:99], s[16:17]
	v_fma_f64 v[140:141], s[18:19], v[86:87], v[156:157]
	v_add_f64 v[74:75], v[72:73], v[74:75]
	v_mul_f64 v[152:153], v[106:107], s[44:45]
	v_fma_f64 v[72:73], s[10:11], v[94:95], v[154:155]
	v_add_f64 v[140:141], v[0:1], v[140:141]
	v_mul_f64 v[148:149], v[114:115], s[36:37]
	v_add_f64 v[72:73], v[72:73], v[140:141]
	v_fma_f64 v[140:141], s[2:3], v[102:103], v[152:153]
	v_mul_f64 v[144:145], v[122:123], s[34:35]
	v_add_f64 v[72:73], v[140:141], v[72:73]
	v_fma_f64 v[140:141], s[22:23], v[110:111], v[148:149]
	v_add_f64 v[72:73], v[140:141], v[72:73]
	v_fma_f64 v[140:141], s[28:29], v[118:119], v[144:145]
	v_mul_f64 v[158:159], v[132:133], s[14:15]
	v_add_f64 v[72:73], v[140:141], v[72:73]
	v_fma_f64 v[140:141], s[6:7], v[126:127], v[158:159]
	v_fmac_f64_e32 v[150:151], s[18:19], v[88:89]
	v_add_f64 v[72:73], v[140:141], v[72:73]
	v_fmac_f64_e32 v[146:147], s[10:11], v[96:97]
	v_add_f64 v[140:141], v[2:3], v[150:151]
	v_fmac_f64_e32 v[142:143], s[2:3], v[104:105]
	v_add_f64 v[140:141], v[146:147], v[140:141]
	v_fmac_f64_e32 v[138:139], s[22:23], v[112:113]
	v_add_f64 v[140:141], v[142:143], v[140:141]
	v_fmac_f64_e32 v[134:135], s[28:29], v[120:121]
	v_add_f64 v[138:139], v[138:139], v[140:141]
	v_fmac_f64_e32 v[130:131], s[6:7], v[128:129]
	v_add_f64 v[134:135], v[134:135], v[138:139]
	v_fma_f64 v[146:147], v[86:87], s[18:19], -v[156:157]
	v_add_f64 v[140:141], v[130:131], v[134:135]
	v_fma_f64 v[134:135], v[118:119], s[28:29], -v[144:145]
	v_fma_f64 v[144:145], v[94:95], s[10:11], -v[154:155]
	v_add_f64 v[146:147], v[0:1], v[146:147]
	v_fma_f64 v[142:143], v[102:103], s[2:3], -v[152:153]
	v_add_f64 v[144:145], v[144:145], v[146:147]
	v_mul_f64 v[154:155], v[92:93], s[34:35]
	v_fma_f64 v[138:139], v[110:111], s[22:23], -v[148:149]
	v_add_f64 v[142:143], v[142:143], v[144:145]
	v_mul_f64 v[150:151], v[100:101], s[12:13]
	;; [unrolled: 3-line block ×3, first 2 shown]
	v_fma_f64 v[152:153], v[96:97], s[2:3], -v[150:151]
	v_add_f64 v[156:157], v[2:3], v[156:157]
	v_fma_f64 v[130:131], v[126:127], s[6:7], -v[158:159]
	v_add_f64 v[134:135], v[134:135], v[138:139]
	v_mul_f64 v[146:147], v[116:117], s[20:21]
	v_fma_f64 v[144:145], v[104:105], s[10:11], -v[148:149]
	v_add_f64 v[152:153], v[152:153], v[156:157]
	v_add_f64 v[138:139], v[130:131], v[134:135]
	v_mul_f64 v[130:131], v[124:125], s[30:31]
	v_fma_f64 v[142:143], v[112:113], s[6:7], -v[146:147]
	v_add_f64 v[144:145], v[144:145], v[152:153]
	v_mul_f64 v[158:159], v[90:91], s[34:35]
	v_fmac_f64_e32 v[154:155], s[28:29], v[88:89]
	v_fma_f64 v[134:135], v[120:121], s[18:19], -v[130:131]
	v_add_f64 v[142:143], v[142:143], v[144:145]
	v_mul_f64 v[156:157], v[98:99], s[12:13]
	v_fma_f64 v[144:145], s[28:29], v[86:87], v[158:159]
	v_fmac_f64_e32 v[150:151], s[2:3], v[96:97]
	v_add_f64 v[154:155], v[2:3], v[154:155]
	v_add_f64 v[134:135], v[134:135], v[142:143]
	v_mul_f64 v[152:153], v[106:107], s[16:17]
	v_fma_f64 v[142:143], s[2:3], v[94:95], v[156:157]
	v_add_f64 v[144:145], v[0:1], v[144:145]
	v_add_f64 v[150:151], v[150:151], v[154:155]
	v_fmac_f64_e32 v[148:149], s[10:11], v[104:105]
	v_add_f64 v[142:143], v[142:143], v[144:145]
	v_fma_f64 v[144:145], s[10:11], v[102:103], v[152:153]
	v_add_f64 v[148:149], v[148:149], v[150:151]
	v_fma_f64 v[150:151], v[102:103], s[10:11], -v[152:153]
	v_fma_f64 v[152:153], v[94:95], s[2:3], -v[156:157]
	;; [unrolled: 1-line block ×3, first 2 shown]
	v_mul_f64 v[156:157], v[92:93], s[26:27]
	v_add_f64 v[154:155], v[0:1], v[154:155]
	v_mul_f64 v[100:101], v[100:101], s[34:35]
	v_fma_f64 v[92:93], v[88:89], s[22:23], -v[156:157]
	v_add_f64 v[152:153], v[152:153], v[154:155]
	v_fma_f64 v[154:155], v[96:97], s[28:29], -v[100:101]
	v_add_f64 v[92:93], v[2:3], v[92:93]
	v_add_f64 v[92:93], v[154:155], v[92:93]
	v_mul_f64 v[154:155], v[90:91], s[26:27]
	v_fma_f64 v[90:91], s[22:23], v[86:87], v[154:155]
	v_fmac_f64_e32 v[156:157], s[22:23], v[88:89]
	v_fma_f64 v[86:87], v[86:87], s[22:23], -v[154:155]
	v_add_f64 v[90:91], v[0:1], v[90:91]
	v_add_f64 v[88:89], v[2:3], v[156:157]
	;; [unrolled: 1-line block ×7, first 2 shown]
	v_mul_f64 v[160:161], v[114:115], s[20:21]
	v_add_f64 v[2:3], v[18:19], v[2:3]
	v_add_f64 v[0:1], v[16:17], v[0:1]
	v_add_f64 v[142:143], v[144:145], v[142:143]
	v_fma_f64 v[144:145], s[6:7], v[110:111], v[160:161]
	v_mul_f64 v[162:163], v[122:123], s[30:31]
	v_add_f64 v[2:3], v[22:23], v[2:3]
	v_add_f64 v[0:1], v[20:21], v[0:1]
	;; [unrolled: 1-line block ×3, first 2 shown]
	v_fma_f64 v[144:145], s[18:19], v[118:119], v[162:163]
	v_mul_f64 v[164:165], v[136:137], s[36:37]
	v_fmac_f64_e32 v[146:147], s[6:7], v[112:113]
	v_add_f64 v[2:3], v[26:27], v[2:3]
	v_add_f64 v[0:1], v[24:25], v[0:1]
	;; [unrolled: 1-line block ×3, first 2 shown]
	v_fma_f64 v[144:145], v[128:129], s[22:23], -v[164:165]
	v_add_f64 v[146:147], v[146:147], v[148:149]
	v_fmac_f64_e32 v[130:131], s[18:19], v[120:121]
	v_mul_f64 v[108:109], v[108:109], s[24:25]
	v_add_f64 v[2:3], v[34:35], v[2:3]
	v_add_f64 v[0:1], v[32:33], v[0:1]
	;; [unrolled: 1-line block ×3, first 2 shown]
	v_mul_f64 v[134:135], v[132:133], s[36:37]
	v_fmac_f64_e32 v[164:165], s[22:23], v[128:129]
	v_add_f64 v[130:131], v[130:131], v[146:147]
	v_fma_f64 v[146:147], v[110:111], s[6:7], -v[160:161]
	v_add_f64 v[150:151], v[150:151], v[152:153]
	v_fma_f64 v[152:153], v[104:105], s[18:19], -v[108:109]
	v_mul_f64 v[98:99], v[98:99], s[34:35]
	v_add_f64 v[2:3], v[38:39], v[2:3]
	v_add_f64 v[0:1], v[36:37], v[0:1]
	v_fma_f64 v[166:167], s[22:23], v[126:127], v[134:135]
	v_add_f64 v[148:149], v[164:165], v[130:131]
	v_fma_f64 v[130:131], v[126:127], s[22:23], -v[134:135]
	v_fma_f64 v[134:135], v[118:119], s[18:19], -v[162:163]
	v_add_f64 v[146:147], v[146:147], v[150:151]
	v_mul_f64 v[116:117], v[116:117], s[12:13]
	v_add_f64 v[92:93], v[152:153], v[92:93]
	v_mul_f64 v[106:107], v[106:107], s[24:25]
	v_fma_f64 v[152:153], s[28:29], v[94:95], v[98:99]
	v_fmac_f64_e32 v[100:101], s[28:29], v[96:97]
	v_fma_f64 v[94:95], v[94:95], s[28:29], -v[98:99]
	v_add_f64 v[2:3], v[42:43], v[2:3]
	v_add_f64 v[0:1], v[40:41], v[0:1]
	;; [unrolled: 1-line block ×3, first 2 shown]
	v_mul_f64 v[124:125], v[124:125], s[14:15]
	v_fma_f64 v[150:151], v[112:113], s[2:3], -v[116:117]
	v_mul_f64 v[114:115], v[114:115], s[12:13]
	v_add_f64 v[90:91], v[152:153], v[90:91]
	v_fma_f64 v[152:153], s[18:19], v[102:103], v[106:107]
	v_fmac_f64_e32 v[108:109], s[18:19], v[104:105]
	v_add_f64 v[88:89], v[100:101], v[88:89]
	v_fma_f64 v[102:103], v[102:103], s[18:19], -v[106:107]
	v_add_f64 v[86:87], v[94:95], v[86:87]
	v_add_f64 v[2:3], v[46:47], v[2:3]
	;; [unrolled: 1-line block ×4, first 2 shown]
	v_mul_f64 v[130:131], v[136:137], s[16:17]
	v_fma_f64 v[136:137], v[120:121], s[6:7], -v[124:125]
	v_add_f64 v[92:93], v[150:151], v[92:93]
	v_mul_f64 v[122:123], v[122:123], s[14:15]
	v_fma_f64 v[150:151], s[2:3], v[110:111], v[114:115]
	v_add_f64 v[90:91], v[152:153], v[90:91]
	v_fmac_f64_e32 v[116:117], s[2:3], v[112:113]
	v_add_f64 v[88:89], v[108:109], v[88:89]
	v_fma_f64 v[104:105], v[110:111], s[2:3], -v[114:115]
	v_add_f64 v[86:87], v[102:103], v[86:87]
	v_add_f64 v[2:3], v[50:51], v[2:3]
	;; [unrolled: 1-line block ×3, first 2 shown]
	v_fma_f64 v[134:135], v[128:129], s[10:11], -v[130:131]
	v_add_f64 v[92:93], v[136:137], v[92:93]
	v_mul_f64 v[132:133], v[132:133], s[16:17]
	v_fma_f64 v[136:137], s[6:7], v[118:119], v[122:123]
	v_add_f64 v[90:91], v[150:151], v[90:91]
	v_fmac_f64_e32 v[124:125], s[6:7], v[120:121]
	v_add_f64 v[88:89], v[116:117], v[88:89]
	v_fma_f64 v[100:101], v[118:119], s[6:7], -v[122:123]
	v_add_f64 v[86:87], v[104:105], v[86:87]
	v_add_f64 v[2:3], v[58:59], v[2:3]
	;; [unrolled: 1-line block ×3, first 2 shown]
	v_mul_u32_u24_e32 v4, 0xd0, v84
	v_add_f64 v[92:93], v[134:135], v[92:93]
	v_fma_f64 v[134:135], s[10:11], v[126:127], v[132:133]
	v_add_f64 v[90:91], v[136:137], v[90:91]
	v_fmac_f64_e32 v[130:131], s[10:11], v[128:129]
	v_add_f64 v[88:89], v[124:125], v[88:89]
	v_fma_f64 v[96:97], v[126:127], s[10:11], -v[132:133]
	v_add_f64 v[86:87], v[100:101], v[86:87]
	v_add_f64 v[2:3], v[62:63], v[2:3]
	;; [unrolled: 1-line block ×3, first 2 shown]
	v_add3_u32 v4, 0, v4, v83
	v_add_f64 v[142:143], v[166:167], v[142:143]
	v_add_f64 v[90:91], v[134:135], v[90:91]
	;; [unrolled: 1-line block ×4, first 2 shown]
	ds_write_b128 v4, v[0:3]
	ds_write_b128 v4, v[86:89] offset:16
	ds_write_b128 v4, v[146:149] offset:32
	;; [unrolled: 1-line block ×12, first 2 shown]
.LBB0_14:
	s_or_b64 exec, exec, s[40:41]
	v_lshlrev_b32_e32 v0, 4, v84
	v_add3_u32 v24, 0, v83, v0
	s_waitcnt lgkmcnt(0)
	s_barrier
	v_add3_u32 v25, 0, v0, v83
	ds_read_b128 v[0:3], v24
	ds_read_b128 v[20:23], v25 offset:1456
	ds_read_b128 v[16:19], v25 offset:2912
	;; [unrolled: 1-line block ×4, first 2 shown]
	v_cmp_gt_u32_e64 s[0:1], 26, v84
	s_and_saveexec_b64 s[2:3], s[0:1]
	s_cbranch_execz .LBB0_16
; %bb.15:
	ds_read_b128 v[12:15], v25 offset:1040
	ds_read_b128 v[64:67], v25 offset:2496
	;; [unrolled: 1-line block ×5, first 2 shown]
.LBB0_16:
	s_or_b64 exec, exec, s[2:3]
	s_movk_i32 s18, 0x4f
	v_mul_lo_u16_sdwa v26, v84, s18 dst_sel:DWORD dst_unused:UNUSED_PAD src0_sel:BYTE_0 src1_sel:DWORD
	v_lshrrev_b16_e32 v27, 10, v26
	v_mul_lo_u16_e32 v26, 13, v27
	v_sub_u16_e32 v78, v84, v26
	v_mov_b32_e32 v26, 6
	v_lshlrev_b32_sdwa v48, v26, v78 dst_sel:DWORD dst_unused:UNUSED_PAD src0_sel:DWORD src1_sel:BYTE_0
	global_load_dwordx4 v[32:35], v48, s[4:5]
	global_load_dwordx4 v[36:39], v48, s[4:5] offset:16
	global_load_dwordx4 v[40:43], v48, s[4:5] offset:32
	;; [unrolled: 1-line block ×3, first 2 shown]
	s_mov_b32 s10, 0x134454ff
	s_mov_b32 s11, 0x3fee6f0e
	;; [unrolled: 1-line block ×8, first 2 shown]
	s_movk_i32 s19, 0x410
	s_mov_b32 s6, 0x372fe950
	s_mov_b32 s7, 0x3fd3c6ef
	s_waitcnt lgkmcnt(0)
	s_barrier
	s_waitcnt vmcnt(3)
	v_mul_f64 v[48:49], v[22:23], v[34:35]
	v_mul_f64 v[34:35], v[20:21], v[34:35]
	s_waitcnt vmcnt(2)
	v_mul_f64 v[50:51], v[18:19], v[38:39]
	v_mul_f64 v[38:39], v[16:17], v[38:39]
	s_waitcnt vmcnt(1)
	v_mul_f64 v[56:57], v[10:11], v[42:43]
	s_waitcnt vmcnt(0)
	v_mul_f64 v[58:59], v[6:7], v[46:47]
	v_mul_f64 v[46:47], v[4:5], v[46:47]
	v_fma_f64 v[20:21], v[20:21], v[32:33], -v[48:49]
	v_mul_f64 v[42:43], v[8:9], v[42:43]
	v_fma_f64 v[16:17], v[16:17], v[36:37], -v[50:51]
	v_fmac_f64_e32 v[38:39], v[18:19], v[36:37]
	v_fma_f64 v[18:19], v[8:9], v[40:41], -v[56:57]
	v_fma_f64 v[4:5], v[4:5], v[44:45], -v[58:59]
	v_fmac_f64_e32 v[46:47], v[6:7], v[44:45]
	v_add_f64 v[6:7], v[0:1], v[20:21]
	v_fmac_f64_e32 v[34:35], v[22:23], v[32:33]
	v_fmac_f64_e32 v[42:43], v[10:11], v[40:41]
	v_add_f64 v[8:9], v[16:17], v[18:19]
	v_add_f64 v[22:23], v[20:21], -v[16:17]
	v_add_f64 v[32:33], v[4:5], -v[18:19]
	v_add_f64 v[40:41], v[20:21], v[4:5]
	v_add_f64 v[44:45], v[16:17], -v[20:21]
	v_add_f64 v[60:61], v[16:17], -v[18:19]
	v_add_f64 v[16:17], v[6:7], v[16:17]
	v_add_f64 v[36:37], v[38:39], -v[42:43]
	v_add_f64 v[50:51], v[2:3], v[34:35]
	v_add_f64 v[56:57], v[38:39], v[42:43]
	v_add_f64 v[58:59], v[20:21], -v[4:5]
	v_add_f64 v[20:21], v[34:35], -v[38:39]
	v_add_f64 v[62:63], v[46:47], -v[42:43]
	v_add_f64 v[72:73], v[34:35], v[46:47]
	v_fma_f64 v[6:7], -0.5, v[8:9], v[0:1]
	v_add_f64 v[76:77], v[22:23], v[32:33]
	v_fmac_f64_e32 v[0:1], -0.5, v[40:41]
	v_add_f64 v[32:33], v[16:17], v[18:19]
	v_add_f64 v[10:11], v[34:35], -v[46:47]
	v_add_f64 v[48:49], v[18:19], -v[4:5]
	v_add_f64 v[34:35], v[38:39], -v[34:35]
	v_add_f64 v[74:75], v[42:43], -v[46:47]
	v_add_f64 v[22:23], v[50:51], v[38:39]
	v_fma_f64 v[8:9], -0.5, v[56:57], v[2:3]
	v_add_f64 v[38:39], v[20:21], v[62:63]
	v_fmac_f64_e32 v[2:3], -0.5, v[72:73]
	v_fma_f64 v[20:21], s[14:15], v[36:37], v[0:1]
	v_fmac_f64_e32 v[0:1], s[10:11], v[36:37]
	v_add_f64 v[32:33], v[32:33], v[4:5]
	v_mov_b32_e32 v4, 4
	v_add_f64 v[40:41], v[44:45], v[48:49]
	v_add_f64 v[44:45], v[34:35], v[74:75]
	v_fma_f64 v[16:17], s[10:11], v[10:11], v[6:7]
	v_fmac_f64_e32 v[6:7], s[14:15], v[10:11]
	v_add_f64 v[34:35], v[22:23], v[42:43]
	v_fma_f64 v[18:19], s[14:15], v[58:59], v[8:9]
	v_fmac_f64_e32 v[8:9], s[10:11], v[58:59]
	v_fma_f64 v[22:23], s[10:11], v[60:61], v[2:3]
	v_fmac_f64_e32 v[2:3], s[14:15], v[60:61]
	v_fmac_f64_e32 v[20:21], s[2:3], v[10:11]
	;; [unrolled: 1-line block ×3, first 2 shown]
	v_mad_u32_u24 v5, v27, s19, 0
	v_lshlrev_b32_sdwa v10, v4, v78 dst_sel:DWORD dst_unused:UNUSED_PAD src0_sel:DWORD src1_sel:BYTE_0
	v_fmac_f64_e32 v[16:17], s[2:3], v[36:37]
	v_fmac_f64_e32 v[6:7], s[12:13], v[36:37]
	v_add_f64 v[34:35], v[34:35], v[46:47]
	v_fmac_f64_e32 v[18:19], s[12:13], v[60:61]
	v_fmac_f64_e32 v[8:9], s[2:3], v[60:61]
	;; [unrolled: 1-line block ×4, first 2 shown]
	v_add3_u32 v5, v5, v10, v83
	v_fmac_f64_e32 v[16:17], s[6:7], v[76:77]
	v_fmac_f64_e32 v[6:7], s[6:7], v[76:77]
	;; [unrolled: 1-line block ×8, first 2 shown]
	ds_write_b128 v5, v[32:35]
	ds_write_b128 v5, v[16:19] offset:208
	ds_write_b128 v5, v[20:23] offset:416
	;; [unrolled: 1-line block ×4, first 2 shown]
	s_and_saveexec_b64 s[16:17], s[0:1]
	s_cbranch_execz .LBB0_18
; %bb.17:
	v_add_u16_e32 v0, 0x41, v84
	v_mul_lo_u16_sdwa v1, v0, s18 dst_sel:DWORD dst_unused:UNUSED_PAD src0_sel:BYTE_0 src1_sel:DWORD
	v_lshrrev_b16_e32 v5, 10, v1
	v_mul_lo_u16_e32 v1, 13, v5
	v_sub_u16_e32 v10, v0, v1
	v_lshlrev_b32_sdwa v11, v26, v10 dst_sel:DWORD dst_unused:UNUSED_PAD src0_sel:DWORD src1_sel:BYTE_0
	global_load_dwordx4 v[0:3], v11, s[4:5] offset:16
	global_load_dwordx4 v[6:9], v11, s[4:5]
	global_load_dwordx4 v[16:19], v11, s[4:5] offset:32
	global_load_dwordx4 v[20:23], v11, s[4:5] offset:48
	v_mad_u32_u24 v5, v5, s19, 0
	v_lshlrev_b32_sdwa v4, v4, v10 dst_sel:DWORD dst_unused:UNUSED_PAD src0_sel:DWORD src1_sel:BYTE_0
	v_add3_u32 v58, v5, v4, v83
	s_waitcnt vmcnt(3)
	v_mul_f64 v[4:5], v[68:69], v[2:3]
	s_waitcnt vmcnt(2)
	v_mul_f64 v[10:11], v[64:65], v[8:9]
	;; [unrolled: 2-line block ×4, first 2 shown]
	v_mul_f64 v[8:9], v[66:67], v[8:9]
	v_mul_f64 v[22:23], v[30:31], v[22:23]
	;; [unrolled: 1-line block ×4, first 2 shown]
	v_fmac_f64_e32 v[4:5], v[70:71], v[0:1]
	v_fmac_f64_e32 v[10:11], v[66:67], v[6:7]
	;; [unrolled: 1-line block ×4, first 2 shown]
	v_fma_f64 v[6:7], v[64:65], v[6:7], -v[8:9]
	v_fma_f64 v[20:21], v[28:29], v[20:21], -v[22:23]
	;; [unrolled: 1-line block ×4, first 2 shown]
	v_add_f64 v[0:1], v[4:5], -v[10:11]
	v_add_f64 v[2:3], v[26:27], -v[32:33]
	v_add_f64 v[22:23], v[10:11], v[32:33]
	v_add_f64 v[30:31], v[10:11], -v[4:5]
	v_add_f64 v[34:35], v[32:33], -v[26:27]
	v_add_f64 v[36:37], v[4:5], v[26:27]
	v_add_f64 v[38:39], v[14:15], v[10:11]
	;; [unrolled: 1-line block ×5, first 2 shown]
	v_add_f64 v[18:19], v[6:7], -v[20:21]
	v_add_f64 v[28:29], v[8:9], -v[16:17]
	;; [unrolled: 1-line block ×7, first 2 shown]
	v_add_f64 v[56:57], v[0:1], v[2:3]
	v_fma_f64 v[2:3], -0.5, v[22:23], v[14:15]
	v_add_f64 v[22:23], v[30:31], v[34:35]
	v_fma_f64 v[6:7], -0.5, v[36:37], v[14:15]
	;; [unrolled: 2-line block ×3, first 2 shown]
	v_fma_f64 v[4:5], -0.5, v[52:53], v[12:13]
	v_add_f64 v[38:39], v[54:55], v[8:9]
	v_add_f64 v[42:43], v[16:17], -v[20:21]
	v_add_f64 v[36:37], v[10:11], v[50:51]
	v_fma_f64 v[10:11], s[14:15], v[28:29], v[2:3]
	v_fmac_f64_e32 v[2:3], s[10:11], v[28:29]
	v_fma_f64 v[14:15], s[10:11], v[18:19], v[6:7]
	v_fmac_f64_e32 v[6:7], s[14:15], v[18:19]
	v_add_f64 v[26:27], v[30:31], v[26:27]
	v_fma_f64 v[8:9], s[10:11], v[44:45], v[0:1]
	v_fmac_f64_e32 v[0:1], s[14:15], v[44:45]
	v_fma_f64 v[12:13], s[14:15], v[48:49], v[4:5]
	v_fmac_f64_e32 v[4:5], s[10:11], v[48:49]
	v_add_f64 v[16:17], v[38:39], v[16:17]
	v_add_f64 v[34:35], v[40:41], v[42:43]
	v_fmac_f64_e32 v[10:11], s[2:3], v[18:19]
	v_fmac_f64_e32 v[2:3], s[12:13], v[18:19]
	v_fmac_f64_e32 v[14:15], s[2:3], v[28:29]
	v_fmac_f64_e32 v[6:7], s[12:13], v[28:29]
	v_add_f64 v[18:19], v[26:27], v[32:33]
	v_fmac_f64_e32 v[8:9], s[12:13], v[48:49]
	v_fmac_f64_e32 v[0:1], s[2:3], v[48:49]
	v_fmac_f64_e32 v[12:13], s[12:13], v[44:45]
	v_fmac_f64_e32 v[4:5], s[2:3], v[44:45]
	;; [unrolled: 5-line block ×3, first 2 shown]
	v_fmac_f64_e32 v[8:9], s[6:7], v[34:35]
	v_fmac_f64_e32 v[0:1], s[6:7], v[34:35]
	;; [unrolled: 1-line block ×4, first 2 shown]
	ds_write_b128 v58, v[16:19]
	ds_write_b128 v58, v[4:7] offset:208
	ds_write_b128 v58, v[0:3] offset:416
	;; [unrolled: 1-line block ×4, first 2 shown]
.LBB0_18:
	s_or_b64 exec, exec, s[16:17]
	s_waitcnt lgkmcnt(0)
	s_barrier
	s_and_saveexec_b64 s[0:1], vcc
	s_cbranch_execz .LBB0_20
; %bb.19:
	v_mul_u32_u24_e32 v0, 6, v84
	v_lshlrev_b32_e32 v26, 4, v0
	global_load_dwordx4 v[0:3], v26, s[4:5] offset:880
	global_load_dwordx4 v[4:7], v26, s[4:5] offset:864
	;; [unrolled: 1-line block ×6, first 2 shown]
	ds_read_b128 v[26:29], v25 offset:3120
	ds_read_b128 v[30:33], v25 offset:2080
	;; [unrolled: 1-line block ×6, first 2 shown]
	ds_read_b128 v[50:53], v24
	s_mov_b32 s10, 0x37e14327
	s_mov_b32 s6, 0x36b3c0b5
	;; [unrolled: 1-line block ×12, first 2 shown]
	v_mov_b32_e32 v83, 0
	s_waitcnt vmcnt(5) lgkmcnt(4)
	v_mul_f64 v[24:25], v[2:3], v[36:37]
	s_waitcnt vmcnt(4)
	v_mul_f64 v[54:55], v[6:7], v[28:29]
	s_waitcnt vmcnt(3)
	v_mul_f64 v[56:57], v[10:11], v[32:33]
	s_waitcnt vmcnt(2) lgkmcnt(3)
	v_mul_f64 v[58:59], v[14:15], v[40:41]
	s_waitcnt vmcnt(1) lgkmcnt(1)
	v_mul_f64 v[60:61], v[18:19], v[48:49]
	s_waitcnt vmcnt(0)
	v_mul_f64 v[62:63], v[22:23], v[44:45]
	v_mul_f64 v[28:29], v[4:5], v[28:29]
	;; [unrolled: 1-line block ×7, first 2 shown]
	v_fmac_f64_e32 v[28:29], v[26:27], v[6:7]
	v_fmac_f64_e32 v[36:37], v[34:35], v[2:3]
	;; [unrolled: 1-line block ×6, first 2 shown]
	v_fma_f64 v[0:1], v[0:1], v[34:35], -v[24:25]
	v_fma_f64 v[4:5], v[4:5], v[26:27], -v[54:55]
	;; [unrolled: 1-line block ×6, first 2 shown]
	v_add_f64 v[6:7], v[36:37], v[28:29]
	v_add_f64 v[18:19], v[32:33], v[40:41]
	v_add_f64 v[22:23], v[48:49], v[44:45]
	v_add_f64 v[2:3], v[0:1], -v[4:5]
	v_add_f64 v[10:11], v[8:9], -v[12:13]
	;; [unrolled: 1-line block ×3, first 2 shown]
	v_add_f64 v[0:1], v[0:1], v[4:5]
	v_add_f64 v[8:9], v[8:9], v[12:13]
	;; [unrolled: 1-line block ×3, first 2 shown]
	v_add_f64 v[4:5], v[36:37], -v[28:29]
	v_add_f64 v[28:29], v[22:23], -v[6:7]
	v_add_f64 v[30:31], v[18:19], v[22:23]
	v_add_f64 v[16:17], v[32:33], -v[40:41]
	v_add_f64 v[20:21], v[2:3], v[10:11]
	v_add_f64 v[24:25], v[2:3], -v[10:11]
	v_add_f64 v[26:27], v[14:15], -v[2:3]
	v_add_f64 v[2:3], v[6:7], -v[18:19]
	v_add_f64 v[36:37], v[8:9], v[12:13]
	v_mul_f64 v[28:29], v[28:29], s[10:11]
	v_add_f64 v[6:7], v[6:7], v[30:31]
	v_add_f64 v[34:35], v[12:13], -v[0:1]
	v_mul_f64 v[38:39], v[2:3], s[6:7]
	v_add_f64 v[36:37], v[0:1], v[36:37]
	v_fma_f64 v[42:43], s[6:7], v[2:3], v[28:29]
	s_waitcnt lgkmcnt(0)
	v_add_f64 v[2:3], v[52:53], v[6:7]
	v_add_f64 v[44:45], v[48:49], -v[44:45]
	v_add_f64 v[48:49], v[4:5], -v[16:17]
	;; [unrolled: 1-line block ×3, first 2 shown]
	v_mul_f64 v[24:25], v[24:25], s[4:5]
	v_mul_f64 v[34:35], v[34:35], s[10:11]
	v_add_f64 v[0:1], v[50:51], v[36:37]
	v_mov_b64_e32 v[46:47], v[2:3]
	v_mul_f64 v[48:49], v[48:49], s[4:5]
	s_mov_b32 s4, 0x429ad128
	v_add_f64 v[20:21], v[20:21], v[14:15]
	v_mul_f64 v[30:31], v[32:33], s[6:7]
	v_fma_f64 v[32:33], s[6:7], v[32:33], v[34:35]
	v_mov_b64_e32 v[50:51], v[0:1]
	v_fmac_f64_e32 v[46:47], s[12:13], v[6:7]
	v_add_f64 v[52:53], v[44:45], -v[4:5]
	v_add_f64 v[14:15], v[10:11], -v[14:15]
	s_mov_b32 s5, 0x3febfeb5
	s_mov_b32 s7, 0xbfe77f67
	;; [unrolled: 1-line block ×3, first 2 shown]
	v_add_f64 v[12:13], v[8:9], -v[12:13]
	v_fma_f64 v[40:41], s[2:3], v[26:27], v[24:25]
	v_fmac_f64_e32 v[50:51], s[12:13], v[36:37]
	v_add_f64 v[36:37], v[42:43], v[46:47]
	v_add_f64 v[42:43], v[4:5], v[16:17]
	v_fma_f64 v[54:55], s[2:3], v[52:53], v[48:49]
	v_mul_f64 v[10:11], v[14:15], s[4:5]
	s_mov_b32 s3, 0xbfd5d0dc
	v_add_f64 v[18:19], v[18:19], -v[22:23]
	v_fma_f64 v[8:9], v[12:13], s[6:7], -v[34:35]
	v_add_f64 v[16:17], v[16:17], -v[44:45]
	v_fma_f64 v[26:27], v[26:27], s[2:3], -v[10:11]
	v_fma_f64 v[10:11], v[18:19], s[6:7], -v[28:29]
	v_add_f64 v[28:29], v[8:9], v[50:51]
	v_mul_f64 v[8:9], v[16:17], s[4:5]
	s_mov_b32 s7, 0x3fe77f67
	v_add_f64 v[42:43], v[42:43], v[44:45]
	v_fma_f64 v[34:35], v[52:53], s[2:3], -v[8:9]
	v_fma_f64 v[24:25], v[14:15], s[4:5], -v[24:25]
	;; [unrolled: 1-line block ×4, first 2 shown]
	v_fmac_f64_e32 v[40:41], s[0:1], v[20:21]
	v_fmac_f64_e32 v[26:27], s[0:1], v[20:21]
	;; [unrolled: 1-line block ×5, first 2 shown]
	v_add_f64 v[20:21], v[12:13], v[50:51]
	v_add_f64 v[8:9], v[28:29], -v[34:35]
	v_fma_f64 v[18:19], v[18:19], s[6:7], -v[38:39]
	v_add_f64 v[12:13], v[16:17], v[20:21]
	v_add_f64 v[16:17], v[20:21], -v[16:17]
	v_add_f64 v[20:21], v[34:35], v[28:29]
	v_lshl_add_u64 v[28:29], v[80:81], 4, s[8:9]
	v_add_f64 v[32:33], v[32:33], v[50:51]
	v_fmac_f64_e32 v[54:55], s[0:1], v[42:43]
	v_add_f64 v[22:23], v[10:11], v[46:47]
	v_add_f64 v[18:19], v[18:19], v[46:47]
	v_lshl_add_u64 v[28:29], v[82:83], 4, v[28:29]
	v_add_f64 v[10:11], v[26:27], v[22:23]
	v_add_f64 v[14:15], v[18:19], -v[24:25]
	v_add_f64 v[18:19], v[24:25], v[18:19]
	v_add_f64 v[22:23], v[22:23], -v[26:27]
	v_add_f64 v[26:27], v[36:37], -v[40:41]
	v_add_f64 v[24:25], v[54:55], v[32:33]
	global_store_dwordx4 v[28:29], v[0:3], off
	global_store_dwordx4 v[28:29], v[24:27], off offset:1040
	global_store_dwordx4 v[28:29], v[20:23], off offset:2080
	;; [unrolled: 1-line block ×3, first 2 shown]
	v_add_co_u32_e32 v0, vcc, 0x1000, v28
	v_add_f64 v[6:7], v[40:41], v[36:37]
	s_nop 0
	v_addc_co_u32_e32 v1, vcc, 0, v29, vcc
	v_add_f64 v[4:5], v[32:33], -v[54:55]
	global_store_dwordx4 v[0:1], v[12:15], off offset:64
	global_store_dwordx4 v[0:1], v[8:11], off offset:1104
	;; [unrolled: 1-line block ×3, first 2 shown]
.LBB0_20:
	s_endpgm
	.section	.rodata,"a",@progbits
	.p2align	6, 0x0
	.amdhsa_kernel fft_rtc_fwd_len455_factors_13_5_7_wgs_195_tpt_65_dp_ip_CI_unitstride_sbrr_dirReg
		.amdhsa_group_segment_fixed_size 0
		.amdhsa_private_segment_fixed_size 0
		.amdhsa_kernarg_size 88
		.amdhsa_user_sgpr_count 2
		.amdhsa_user_sgpr_dispatch_ptr 0
		.amdhsa_user_sgpr_queue_ptr 0
		.amdhsa_user_sgpr_kernarg_segment_ptr 1
		.amdhsa_user_sgpr_dispatch_id 0
		.amdhsa_user_sgpr_kernarg_preload_length 0
		.amdhsa_user_sgpr_kernarg_preload_offset 0
		.amdhsa_user_sgpr_private_segment_size 0
		.amdhsa_uses_dynamic_stack 0
		.amdhsa_enable_private_segment 0
		.amdhsa_system_sgpr_workgroup_id_x 1
		.amdhsa_system_sgpr_workgroup_id_y 0
		.amdhsa_system_sgpr_workgroup_id_z 0
		.amdhsa_system_sgpr_workgroup_info 0
		.amdhsa_system_vgpr_workitem_id 0
		.amdhsa_next_free_vgpr 168
		.amdhsa_next_free_sgpr 46
		.amdhsa_accum_offset 168
		.amdhsa_reserve_vcc 1
		.amdhsa_float_round_mode_32 0
		.amdhsa_float_round_mode_16_64 0
		.amdhsa_float_denorm_mode_32 3
		.amdhsa_float_denorm_mode_16_64 3
		.amdhsa_dx10_clamp 1
		.amdhsa_ieee_mode 1
		.amdhsa_fp16_overflow 0
		.amdhsa_tg_split 0
		.amdhsa_exception_fp_ieee_invalid_op 0
		.amdhsa_exception_fp_denorm_src 0
		.amdhsa_exception_fp_ieee_div_zero 0
		.amdhsa_exception_fp_ieee_overflow 0
		.amdhsa_exception_fp_ieee_underflow 0
		.amdhsa_exception_fp_ieee_inexact 0
		.amdhsa_exception_int_div_zero 0
	.end_amdhsa_kernel
	.text
.Lfunc_end0:
	.size	fft_rtc_fwd_len455_factors_13_5_7_wgs_195_tpt_65_dp_ip_CI_unitstride_sbrr_dirReg, .Lfunc_end0-fft_rtc_fwd_len455_factors_13_5_7_wgs_195_tpt_65_dp_ip_CI_unitstride_sbrr_dirReg
                                        ; -- End function
	.section	.AMDGPU.csdata,"",@progbits
; Kernel info:
; codeLenInByte = 7728
; NumSgprs: 52
; NumVgprs: 168
; NumAgprs: 0
; TotalNumVgprs: 168
; ScratchSize: 0
; MemoryBound: 1
; FloatMode: 240
; IeeeMode: 1
; LDSByteSize: 0 bytes/workgroup (compile time only)
; SGPRBlocks: 6
; VGPRBlocks: 20
; NumSGPRsForWavesPerEU: 52
; NumVGPRsForWavesPerEU: 168
; AccumOffset: 168
; Occupancy: 3
; WaveLimiterHint : 1
; COMPUTE_PGM_RSRC2:SCRATCH_EN: 0
; COMPUTE_PGM_RSRC2:USER_SGPR: 2
; COMPUTE_PGM_RSRC2:TRAP_HANDLER: 0
; COMPUTE_PGM_RSRC2:TGID_X_EN: 1
; COMPUTE_PGM_RSRC2:TGID_Y_EN: 0
; COMPUTE_PGM_RSRC2:TGID_Z_EN: 0
; COMPUTE_PGM_RSRC2:TIDIG_COMP_CNT: 0
; COMPUTE_PGM_RSRC3_GFX90A:ACCUM_OFFSET: 41
; COMPUTE_PGM_RSRC3_GFX90A:TG_SPLIT: 0
	.text
	.p2alignl 6, 3212836864
	.fill 256, 4, 3212836864
	.type	__hip_cuid_4e634dec8ab6ce28,@object ; @__hip_cuid_4e634dec8ab6ce28
	.section	.bss,"aw",@nobits
	.globl	__hip_cuid_4e634dec8ab6ce28
__hip_cuid_4e634dec8ab6ce28:
	.byte	0                               ; 0x0
	.size	__hip_cuid_4e634dec8ab6ce28, 1

	.ident	"AMD clang version 19.0.0git (https://github.com/RadeonOpenCompute/llvm-project roc-6.4.0 25133 c7fe45cf4b819c5991fe208aaa96edf142730f1d)"
	.section	".note.GNU-stack","",@progbits
	.addrsig
	.addrsig_sym __hip_cuid_4e634dec8ab6ce28
	.amdgpu_metadata
---
amdhsa.kernels:
  - .agpr_count:     0
    .args:
      - .actual_access:  read_only
        .address_space:  global
        .offset:         0
        .size:           8
        .value_kind:     global_buffer
      - .offset:         8
        .size:           8
        .value_kind:     by_value
      - .actual_access:  read_only
        .address_space:  global
        .offset:         16
        .size:           8
        .value_kind:     global_buffer
      - .actual_access:  read_only
        .address_space:  global
        .offset:         24
        .size:           8
        .value_kind:     global_buffer
      - .offset:         32
        .size:           8
        .value_kind:     by_value
      - .actual_access:  read_only
        .address_space:  global
        .offset:         40
        .size:           8
        .value_kind:     global_buffer
      - .actual_access:  read_only
        .address_space:  global
        .offset:         48
        .size:           8
        .value_kind:     global_buffer
      - .offset:         56
        .size:           4
        .value_kind:     by_value
      - .actual_access:  read_only
        .address_space:  global
        .offset:         64
        .size:           8
        .value_kind:     global_buffer
      - .actual_access:  read_only
        .address_space:  global
        .offset:         72
        .size:           8
        .value_kind:     global_buffer
      - .address_space:  global
        .offset:         80
        .size:           8
        .value_kind:     global_buffer
    .group_segment_fixed_size: 0
    .kernarg_segment_align: 8
    .kernarg_segment_size: 88
    .language:       OpenCL C
    .language_version:
      - 2
      - 0
    .max_flat_workgroup_size: 195
    .name:           fft_rtc_fwd_len455_factors_13_5_7_wgs_195_tpt_65_dp_ip_CI_unitstride_sbrr_dirReg
    .private_segment_fixed_size: 0
    .sgpr_count:     52
    .sgpr_spill_count: 0
    .symbol:         fft_rtc_fwd_len455_factors_13_5_7_wgs_195_tpt_65_dp_ip_CI_unitstride_sbrr_dirReg.kd
    .uniform_work_group_size: 1
    .uses_dynamic_stack: false
    .vgpr_count:     168
    .vgpr_spill_count: 0
    .wavefront_size: 64
amdhsa.target:   amdgcn-amd-amdhsa--gfx950
amdhsa.version:
  - 1
  - 2
...

	.end_amdgpu_metadata
